;; amdgpu-corpus repo=ROCm/rocFFT kind=compiled arch=gfx1201 opt=O3
	.text
	.amdgcn_target "amdgcn-amd-amdhsa--gfx1201"
	.amdhsa_code_object_version 6
	.protected	fft_rtc_back_len1750_factors_2_5_5_7_5_wgs_175_tpt_175_halfLds_dp_ip_CI_unitstride_sbrr_R2C_dirReg ; -- Begin function fft_rtc_back_len1750_factors_2_5_5_7_5_wgs_175_tpt_175_halfLds_dp_ip_CI_unitstride_sbrr_R2C_dirReg
	.globl	fft_rtc_back_len1750_factors_2_5_5_7_5_wgs_175_tpt_175_halfLds_dp_ip_CI_unitstride_sbrr_R2C_dirReg
	.p2align	8
	.type	fft_rtc_back_len1750_factors_2_5_5_7_5_wgs_175_tpt_175_halfLds_dp_ip_CI_unitstride_sbrr_R2C_dirReg,@function
fft_rtc_back_len1750_factors_2_5_5_7_5_wgs_175_tpt_175_halfLds_dp_ip_CI_unitstride_sbrr_R2C_dirReg: ; @fft_rtc_back_len1750_factors_2_5_5_7_5_wgs_175_tpt_175_halfLds_dp_ip_CI_unitstride_sbrr_R2C_dirReg
; %bb.0:
	s_clause 0x2
	s_load_b128 s[4:7], s[0:1], 0x0
	s_load_b64 s[8:9], s[0:1], 0x50
	s_load_b64 s[10:11], s[0:1], 0x18
	v_mul_u32_u24_e32 v1, 0x177, v0
	v_mov_b32_e32 v3, 0
	s_delay_alu instid0(VALU_DEP_2) | instskip(NEXT) | instid1(VALU_DEP_1)
	v_lshrrev_b32_e32 v1, 16, v1
	v_add_nc_u32_e32 v5, ttmp9, v1
	v_mov_b32_e32 v1, 0
	v_mov_b32_e32 v2, 0
	;; [unrolled: 1-line block ×3, first 2 shown]
	s_wait_kmcnt 0x0
	v_cmp_lt_u64_e64 s2, s[6:7], 2
	s_delay_alu instid0(VALU_DEP_1)
	s_and_b32 vcc_lo, exec_lo, s2
	s_cbranch_vccnz .LBB0_8
; %bb.1:
	s_load_b64 s[2:3], s[0:1], 0x10
	v_mov_b32_e32 v1, 0
	v_mov_b32_e32 v2, 0
	s_add_nc_u64 s[12:13], s[10:11], 8
	s_mov_b64 s[14:15], 1
	s_wait_kmcnt 0x0
	s_add_nc_u64 s[16:17], s[2:3], 8
	s_mov_b32 s3, 0
.LBB0_2:                                ; =>This Inner Loop Header: Depth=1
	s_load_b64 s[18:19], s[16:17], 0x0
                                        ; implicit-def: $vgpr7_vgpr8
	s_mov_b32 s2, exec_lo
	s_wait_kmcnt 0x0
	v_or_b32_e32 v4, s19, v6
	s_delay_alu instid0(VALU_DEP_1)
	v_cmpx_ne_u64_e32 0, v[3:4]
	s_wait_alu 0xfffe
	s_xor_b32 s20, exec_lo, s2
	s_cbranch_execz .LBB0_4
; %bb.3:                                ;   in Loop: Header=BB0_2 Depth=1
	s_cvt_f32_u32 s2, s18
	s_cvt_f32_u32 s21, s19
	s_sub_nc_u64 s[24:25], 0, s[18:19]
	s_wait_alu 0xfffe
	s_delay_alu instid0(SALU_CYCLE_1) | instskip(SKIP_1) | instid1(SALU_CYCLE_2)
	s_fmamk_f32 s2, s21, 0x4f800000, s2
	s_wait_alu 0xfffe
	v_s_rcp_f32 s2, s2
	s_delay_alu instid0(TRANS32_DEP_1) | instskip(SKIP_1) | instid1(SALU_CYCLE_2)
	s_mul_f32 s2, s2, 0x5f7ffffc
	s_wait_alu 0xfffe
	s_mul_f32 s21, s2, 0x2f800000
	s_wait_alu 0xfffe
	s_delay_alu instid0(SALU_CYCLE_2) | instskip(SKIP_1) | instid1(SALU_CYCLE_2)
	s_trunc_f32 s21, s21
	s_wait_alu 0xfffe
	s_fmamk_f32 s2, s21, 0xcf800000, s2
	s_cvt_u32_f32 s23, s21
	s_wait_alu 0xfffe
	s_delay_alu instid0(SALU_CYCLE_1) | instskip(SKIP_1) | instid1(SALU_CYCLE_2)
	s_cvt_u32_f32 s22, s2
	s_wait_alu 0xfffe
	s_mul_u64 s[26:27], s[24:25], s[22:23]
	s_wait_alu 0xfffe
	s_mul_hi_u32 s29, s22, s27
	s_mul_i32 s28, s22, s27
	s_mul_hi_u32 s2, s22, s26
	s_mul_i32 s30, s23, s26
	s_wait_alu 0xfffe
	s_add_nc_u64 s[28:29], s[2:3], s[28:29]
	s_mul_hi_u32 s21, s23, s26
	s_mul_hi_u32 s31, s23, s27
	s_add_co_u32 s2, s28, s30
	s_wait_alu 0xfffe
	s_add_co_ci_u32 s2, s29, s21
	s_mul_i32 s26, s23, s27
	s_add_co_ci_u32 s27, s31, 0
	s_wait_alu 0xfffe
	s_add_nc_u64 s[26:27], s[2:3], s[26:27]
	s_wait_alu 0xfffe
	v_add_co_u32 v4, s2, s22, s26
	s_delay_alu instid0(VALU_DEP_1) | instskip(SKIP_1) | instid1(VALU_DEP_1)
	s_cmp_lg_u32 s2, 0
	s_add_co_ci_u32 s23, s23, s27
	v_readfirstlane_b32 s22, v4
	s_wait_alu 0xfffe
	s_delay_alu instid0(VALU_DEP_1)
	s_mul_u64 s[24:25], s[24:25], s[22:23]
	s_wait_alu 0xfffe
	s_mul_hi_u32 s27, s22, s25
	s_mul_i32 s26, s22, s25
	s_mul_hi_u32 s2, s22, s24
	s_mul_i32 s28, s23, s24
	s_wait_alu 0xfffe
	s_add_nc_u64 s[26:27], s[2:3], s[26:27]
	s_mul_hi_u32 s21, s23, s24
	s_mul_hi_u32 s22, s23, s25
	s_wait_alu 0xfffe
	s_add_co_u32 s2, s26, s28
	s_add_co_ci_u32 s2, s27, s21
	s_mul_i32 s24, s23, s25
	s_add_co_ci_u32 s25, s22, 0
	s_wait_alu 0xfffe
	s_add_nc_u64 s[24:25], s[2:3], s[24:25]
	s_wait_alu 0xfffe
	v_add_co_u32 v4, s2, v4, s24
	s_delay_alu instid0(VALU_DEP_1) | instskip(SKIP_1) | instid1(VALU_DEP_1)
	s_cmp_lg_u32 s2, 0
	s_add_co_ci_u32 s2, s23, s25
	v_mul_hi_u32 v13, v5, v4
	s_wait_alu 0xfffe
	v_mad_co_u64_u32 v[7:8], null, v5, s2, 0
	v_mad_co_u64_u32 v[9:10], null, v6, v4, 0
	;; [unrolled: 1-line block ×3, first 2 shown]
	s_delay_alu instid0(VALU_DEP_3) | instskip(SKIP_1) | instid1(VALU_DEP_4)
	v_add_co_u32 v4, vcc_lo, v13, v7
	s_wait_alu 0xfffd
	v_add_co_ci_u32_e32 v7, vcc_lo, 0, v8, vcc_lo
	s_delay_alu instid0(VALU_DEP_2) | instskip(SKIP_1) | instid1(VALU_DEP_2)
	v_add_co_u32 v4, vcc_lo, v4, v9
	s_wait_alu 0xfffd
	v_add_co_ci_u32_e32 v4, vcc_lo, v7, v10, vcc_lo
	s_wait_alu 0xfffd
	v_add_co_ci_u32_e32 v7, vcc_lo, 0, v12, vcc_lo
	s_delay_alu instid0(VALU_DEP_2) | instskip(SKIP_1) | instid1(VALU_DEP_2)
	v_add_co_u32 v4, vcc_lo, v4, v11
	s_wait_alu 0xfffd
	v_add_co_ci_u32_e32 v9, vcc_lo, 0, v7, vcc_lo
	s_delay_alu instid0(VALU_DEP_2) | instskip(SKIP_1) | instid1(VALU_DEP_3)
	v_mul_lo_u32 v10, s19, v4
	v_mad_co_u64_u32 v[7:8], null, s18, v4, 0
	v_mul_lo_u32 v11, s18, v9
	s_delay_alu instid0(VALU_DEP_2) | instskip(NEXT) | instid1(VALU_DEP_2)
	v_sub_co_u32 v7, vcc_lo, v5, v7
	v_add3_u32 v8, v8, v11, v10
	s_delay_alu instid0(VALU_DEP_1) | instskip(SKIP_1) | instid1(VALU_DEP_1)
	v_sub_nc_u32_e32 v10, v6, v8
	s_wait_alu 0xfffd
	v_subrev_co_ci_u32_e64 v10, s2, s19, v10, vcc_lo
	v_add_co_u32 v11, s2, v4, 2
	s_wait_alu 0xf1ff
	v_add_co_ci_u32_e64 v12, s2, 0, v9, s2
	v_sub_co_u32 v13, s2, v7, s18
	v_sub_co_ci_u32_e32 v8, vcc_lo, v6, v8, vcc_lo
	s_wait_alu 0xf1ff
	v_subrev_co_ci_u32_e64 v10, s2, 0, v10, s2
	s_delay_alu instid0(VALU_DEP_3) | instskip(NEXT) | instid1(VALU_DEP_3)
	v_cmp_le_u32_e32 vcc_lo, s18, v13
	v_cmp_eq_u32_e64 s2, s19, v8
	s_wait_alu 0xfffd
	v_cndmask_b32_e64 v13, 0, -1, vcc_lo
	v_cmp_le_u32_e32 vcc_lo, s19, v10
	s_wait_alu 0xfffd
	v_cndmask_b32_e64 v14, 0, -1, vcc_lo
	v_cmp_le_u32_e32 vcc_lo, s18, v7
	;; [unrolled: 3-line block ×3, first 2 shown]
	s_wait_alu 0xfffd
	v_cndmask_b32_e64 v15, 0, -1, vcc_lo
	v_cmp_eq_u32_e32 vcc_lo, s19, v10
	s_wait_alu 0xf1ff
	s_delay_alu instid0(VALU_DEP_2)
	v_cndmask_b32_e64 v7, v15, v7, s2
	s_wait_alu 0xfffd
	v_cndmask_b32_e32 v10, v14, v13, vcc_lo
	v_add_co_u32 v13, vcc_lo, v4, 1
	s_wait_alu 0xfffd
	v_add_co_ci_u32_e32 v14, vcc_lo, 0, v9, vcc_lo
	s_delay_alu instid0(VALU_DEP_3) | instskip(SKIP_2) | instid1(VALU_DEP_3)
	v_cmp_ne_u32_e32 vcc_lo, 0, v10
	s_wait_alu 0xfffd
	v_cndmask_b32_e32 v10, v13, v11, vcc_lo
	v_cndmask_b32_e32 v8, v14, v12, vcc_lo
	v_cmp_ne_u32_e32 vcc_lo, 0, v7
	s_wait_alu 0xfffd
	s_delay_alu instid0(VALU_DEP_2)
	v_dual_cndmask_b32 v7, v4, v10 :: v_dual_cndmask_b32 v8, v9, v8
.LBB0_4:                                ;   in Loop: Header=BB0_2 Depth=1
	s_wait_alu 0xfffe
	s_and_not1_saveexec_b32 s2, s20
	s_cbranch_execz .LBB0_6
; %bb.5:                                ;   in Loop: Header=BB0_2 Depth=1
	v_cvt_f32_u32_e32 v4, s18
	s_sub_co_i32 s20, 0, s18
	s_delay_alu instid0(VALU_DEP_1) | instskip(NEXT) | instid1(TRANS32_DEP_1)
	v_rcp_iflag_f32_e32 v4, v4
	v_mul_f32_e32 v4, 0x4f7ffffe, v4
	s_delay_alu instid0(VALU_DEP_1) | instskip(SKIP_1) | instid1(VALU_DEP_1)
	v_cvt_u32_f32_e32 v4, v4
	s_wait_alu 0xfffe
	v_mul_lo_u32 v7, s20, v4
	s_delay_alu instid0(VALU_DEP_1) | instskip(NEXT) | instid1(VALU_DEP_1)
	v_mul_hi_u32 v7, v4, v7
	v_add_nc_u32_e32 v4, v4, v7
	s_delay_alu instid0(VALU_DEP_1) | instskip(NEXT) | instid1(VALU_DEP_1)
	v_mul_hi_u32 v4, v5, v4
	v_mul_lo_u32 v7, v4, s18
	v_add_nc_u32_e32 v8, 1, v4
	s_delay_alu instid0(VALU_DEP_2) | instskip(NEXT) | instid1(VALU_DEP_1)
	v_sub_nc_u32_e32 v7, v5, v7
	v_subrev_nc_u32_e32 v9, s18, v7
	v_cmp_le_u32_e32 vcc_lo, s18, v7
	s_wait_alu 0xfffd
	s_delay_alu instid0(VALU_DEP_2) | instskip(NEXT) | instid1(VALU_DEP_1)
	v_dual_cndmask_b32 v7, v7, v9 :: v_dual_cndmask_b32 v4, v4, v8
	v_cmp_le_u32_e32 vcc_lo, s18, v7
	s_delay_alu instid0(VALU_DEP_2) | instskip(SKIP_1) | instid1(VALU_DEP_1)
	v_add_nc_u32_e32 v8, 1, v4
	s_wait_alu 0xfffd
	v_dual_cndmask_b32 v7, v4, v8 :: v_dual_mov_b32 v8, v3
.LBB0_6:                                ;   in Loop: Header=BB0_2 Depth=1
	s_wait_alu 0xfffe
	s_or_b32 exec_lo, exec_lo, s2
	s_load_b64 s[20:21], s[12:13], 0x0
	s_delay_alu instid0(VALU_DEP_1)
	v_mul_lo_u32 v4, v8, s18
	v_mul_lo_u32 v11, v7, s19
	v_mad_co_u64_u32 v[9:10], null, v7, s18, 0
	s_add_nc_u64 s[14:15], s[14:15], 1
	s_add_nc_u64 s[12:13], s[12:13], 8
	s_wait_alu 0xfffe
	v_cmp_ge_u64_e64 s2, s[14:15], s[6:7]
	s_add_nc_u64 s[16:17], s[16:17], 8
	s_delay_alu instid0(VALU_DEP_2) | instskip(NEXT) | instid1(VALU_DEP_3)
	v_add3_u32 v4, v10, v11, v4
	v_sub_co_u32 v5, vcc_lo, v5, v9
	s_wait_alu 0xfffd
	s_delay_alu instid0(VALU_DEP_2) | instskip(SKIP_3) | instid1(VALU_DEP_2)
	v_sub_co_ci_u32_e32 v4, vcc_lo, v6, v4, vcc_lo
	s_and_b32 vcc_lo, exec_lo, s2
	s_wait_kmcnt 0x0
	v_mul_lo_u32 v6, s21, v5
	v_mul_lo_u32 v4, s20, v4
	v_mad_co_u64_u32 v[1:2], null, s20, v5, v[1:2]
	s_delay_alu instid0(VALU_DEP_1)
	v_add3_u32 v2, v6, v2, v4
	s_wait_alu 0xfffe
	s_cbranch_vccnz .LBB0_9
; %bb.7:                                ;   in Loop: Header=BB0_2 Depth=1
	v_dual_mov_b32 v5, v7 :: v_dual_mov_b32 v6, v8
	s_branch .LBB0_2
.LBB0_8:
	v_dual_mov_b32 v8, v6 :: v_dual_mov_b32 v7, v5
.LBB0_9:
	s_lshl_b64 s[2:3], s[6:7], 3
	v_mul_hi_u32 v3, 0x1767dcf, v0
	s_wait_alu 0xfffe
	s_add_nc_u64 s[2:3], s[10:11], s[2:3]
	s_load_b64 s[0:1], s[0:1], 0x20
	s_load_b64 s[2:3], s[2:3], 0x0
	s_delay_alu instid0(VALU_DEP_1) | instskip(NEXT) | instid1(VALU_DEP_1)
	v_mul_u32_u24_e32 v3, 0xaf, v3
	v_sub_nc_u32_e32 v56, v0, v3
	s_delay_alu instid0(VALU_DEP_1)
	v_add_nc_u32_e32 v61, 0xaf, v56
	v_add_nc_u32_e32 v63, 0x15e, v56
	;; [unrolled: 1-line block ×3, first 2 shown]
	s_wait_kmcnt 0x0
	v_cmp_gt_u64_e32 vcc_lo, s[0:1], v[7:8]
	v_mul_lo_u32 v3, s2, v8
	v_mul_lo_u32 v4, s3, v7
	v_mad_co_u64_u32 v[0:1], null, s2, v7, v[1:2]
	v_cmp_le_u64_e64 s0, s[0:1], v[7:8]
	s_delay_alu instid0(VALU_DEP_2) | instskip(NEXT) | instid1(VALU_DEP_2)
	v_add3_u32 v1, v4, v1, v3
	s_and_saveexec_b32 s1, s0
	s_wait_alu 0xfffe
	s_xor_b32 s0, exec_lo, s1
; %bb.10:
	v_add_nc_u32_e32 v61, 0xaf, v56
	v_add_nc_u32_e32 v63, 0x15e, v56
	;; [unrolled: 1-line block ×3, first 2 shown]
; %bb.11:
	s_wait_alu 0xfffe
	s_or_saveexec_b32 s1, s0
	v_lshlrev_b64_e32 v[58:59], 4, v[0:1]
	s_wait_alu 0xfffe
	s_xor_b32 exec_lo, exec_lo, s1
	s_cbranch_execz .LBB0_13
; %bb.12:
	v_mov_b32_e32 v57, 0
	s_delay_alu instid0(VALU_DEP_2) | instskip(SKIP_2) | instid1(VALU_DEP_3)
	v_add_co_u32 v2, s0, s8, v58
	s_wait_alu 0xf1ff
	v_add_co_ci_u32_e64 v3, s0, s9, v59, s0
	v_lshlrev_b64_e32 v[0:1], 4, v[56:57]
	v_lshl_add_u32 v40, v56, 4, 0
	s_delay_alu instid0(VALU_DEP_2) | instskip(SKIP_1) | instid1(VALU_DEP_3)
	v_add_co_u32 v36, s0, v2, v0
	s_wait_alu 0xf1ff
	v_add_co_ci_u32_e64 v37, s0, v3, v1, s0
	s_clause 0x9
	global_load_b128 v[0:3], v[36:37], off
	global_load_b128 v[4:7], v[36:37], off offset:2800
	global_load_b128 v[8:11], v[36:37], off offset:5600
	global_load_b128 v[12:15], v[36:37], off offset:8400
	global_load_b128 v[16:19], v[36:37], off offset:11200
	global_load_b128 v[20:23], v[36:37], off offset:14000
	global_load_b128 v[24:27], v[36:37], off offset:16800
	global_load_b128 v[28:31], v[36:37], off offset:19600
	global_load_b128 v[32:35], v[36:37], off offset:22400
	global_load_b128 v[36:39], v[36:37], off offset:25200
	s_wait_loadcnt 0x9
	ds_store_b128 v40, v[0:3]
	s_wait_loadcnt 0x8
	ds_store_b128 v40, v[4:7] offset:2800
	s_wait_loadcnt 0x7
	ds_store_b128 v40, v[8:11] offset:5600
	;; [unrolled: 2-line block ×9, first 2 shown]
.LBB0_13:
	s_or_b32 exec_lo, exec_lo, s1
	v_lshlrev_b32_e32 v57, 4, v56
	global_wb scope:SCOPE_SE
	s_wait_dscnt 0x0
	s_barrier_signal -1
	s_barrier_wait -1
	global_inv scope:SCOPE_SE
	v_add_nc_u32_e32 v65, 0, v57
	v_lshl_add_u32 v62, v63, 5, 0
	v_lshl_add_u32 v64, v60, 5, 0
	v_lshlrev_b32_e32 v67, 4, v63
	v_lshlrev_b32_e32 v68, 4, v60
	ds_load_b128 v[0:3], v65 offset:14000
	ds_load_b128 v[4:7], v65
	ds_load_b128 v[8:11], v65 offset:2800
	ds_load_b128 v[12:15], v65 offset:16800
	;; [unrolled: 1-line block ×8, first 2 shown]
	global_wb scope:SCOPE_SE
	s_wait_dscnt 0x0
	s_barrier_signal -1
	s_barrier_wait -1
	global_inv scope:SCOPE_SE
	s_mov_b32 s0, 0x134454ff
	s_mov_b32 s1, 0xbfee6f0e
	;; [unrolled: 1-line block ×3, first 2 shown]
	s_wait_alu 0xfffe
	s_mov_b32 s2, s0
	s_mov_b32 s6, 0x4755a5e
	;; [unrolled: 1-line block ×4, first 2 shown]
	v_add_f64_e64 v[40:41], v[4:5], -v[0:1]
	v_add_f64_e64 v[42:43], v[6:7], -v[2:3]
	;; [unrolled: 1-line block ×10, first 2 shown]
	v_and_b32_e32 v3, 1, v56
	v_add_nc_u32_e32 v1, v65, v57
	v_lshl_add_u32 v12, v61, 5, 0
	v_sub_nc_u32_e32 v2, v64, v68
	s_wait_alu 0xfffe
	s_mov_b32 s10, s6
	v_lshlrev_b32_e32 v0, 6, v3
	s_mov_b32 s12, 0x372fe950
	s_mov_b32 s13, 0x3fd3c6ef
	v_fma_f64 v[4:5], v[4:5], 2.0, -v[40:41]
	v_fma_f64 v[6:7], v[6:7], 2.0, -v[42:43]
	;; [unrolled: 1-line block ×10, first 2 shown]
	ds_store_b128 v1, v[4:7]
	ds_store_b128 v1, v[40:43] offset:16
	ds_store_b128 v12, v[8:11]
	ds_store_b128 v12, v[44:47] offset:16
	;; [unrolled: 2-line block ×3, first 2 shown]
	ds_store_b128 v1, v[21:24] offset:16800
	ds_store_b128 v1, v[28:31] offset:16816
	ds_store_b128 v64, v[32:35]
	ds_store_b128 v64, v[36:39] offset:16
	global_wb scope:SCOPE_SE
	s_wait_dscnt 0x0
	s_barrier_signal -1
	s_barrier_wait -1
	global_inv scope:SCOPE_SE
	s_clause 0x1
	global_load_b128 v[5:8], v0, s[4:5]
	global_load_b128 v[14:17], v0, s[4:5] offset:16
	v_and_b32_e32 v4, 1, v61
	v_lshlrev_b32_e32 v13, 4, v61
	s_delay_alu instid0(VALU_DEP_2)
	v_lshlrev_b32_e32 v1, 6, v4
	s_clause 0x5
	global_load_b128 v[18:21], v0, s[4:5] offset:32
	global_load_b128 v[22:25], v0, s[4:5] offset:48
	global_load_b128 v[26:29], v1, s[4:5]
	global_load_b128 v[30:33], v1, s[4:5] offset:16
	global_load_b128 v[34:37], v1, s[4:5] offset:32
	;; [unrolled: 1-line block ×3, first 2 shown]
	v_sub_nc_u32_e32 v0, v62, v67
	ds_load_b128 v[46:49], v2
	v_sub_nc_u32_e32 v1, v12, v13
	ds_load_b128 v[50:53], v65 offset:25200
	v_sub_nc_u32_e32 v13, 0, v13
	ds_load_b128 v[42:45], v0
	s_wait_loadcnt_dscnt 0x700
	v_mul_f64_e32 v[54:55], v[44:45], v[7:8]
	v_mul_f64_e32 v[93:94], v[42:43], v[7:8]
	s_wait_loadcnt 0x6
	v_mul_f64_e32 v[95:96], v[48:49], v[16:17]
	v_mul_f64_e32 v[16:17], v[46:47], v[16:17]
	ds_load_b128 v[7:10], v1
	ds_load_b128 v[69:72], v65 offset:16800
	ds_load_b128 v[73:76], v65 offset:22400
	;; [unrolled: 1-line block ×5, first 2 shown]
	ds_load_b128 v[89:92], v65
	global_wb scope:SCOPE_SE
	s_wait_loadcnt_dscnt 0x0
	s_barrier_signal -1
	s_barrier_wait -1
	global_inv scope:SCOPE_SE
	v_mul_f64_e32 v[97:98], v[71:72], v[20:21]
	v_mul_f64_e32 v[20:21], v[69:70], v[20:21]
	;; [unrolled: 1-line block ×8, first 2 shown]
	v_fma_f64 v[42:43], v[42:43], v[5:6], v[54:55]
	v_fma_f64 v[5:6], v[44:45], v[5:6], -v[93:94]
	v_mul_f64_e32 v[44:45], v[87:88], v[36:37]
	v_mul_f64_e32 v[54:55], v[52:53], v[40:41]
	;; [unrolled: 1-line block ×3, first 2 shown]
	v_fma_f64 v[46:47], v[46:47], v[14:15], v[95:96]
	v_fma_f64 v[14:15], v[48:49], v[14:15], -v[16:17]
	v_mul_f64_e32 v[16:17], v[50:51], v[40:41]
	v_fma_f64 v[40:41], v[69:70], v[18:19], v[97:98]
	v_fma_f64 v[18:19], v[71:72], v[18:19], -v[20:21]
	v_fma_f64 v[48:49], v[73:74], v[22:23], v[99:100]
	v_fma_f64 v[20:21], v[75:76], v[22:23], -v[24:25]
	;; [unrolled: 2-line block ×4, first 2 shown]
	v_fma_f64 v[44:45], v[85:86], v[34:35], v[44:45]
	v_fma_f64 v[28:29], v[50:51], v[38:39], v[54:55]
	v_fma_f64 v[32:33], v[87:88], v[34:35], -v[36:37]
	v_add_f64_e32 v[85:86], v[89:90], v[42:43]
	v_add_f64_e32 v[87:88], v[91:92], v[5:6]
	v_fma_f64 v[34:35], v[52:53], v[38:39], -v[16:17]
	v_add_f64_e64 v[73:74], v[42:43], -v[46:47]
	v_add_f64_e64 v[77:78], v[46:47], -v[42:43]
	v_add_f64_e64 v[81:82], v[5:6], -v[14:15]
	v_add_f64_e64 v[93:94], v[14:15], -v[5:6]
	v_add_f64_e32 v[16:17], v[46:47], v[40:41]
	v_add_f64_e32 v[38:39], v[14:15], v[18:19]
	;; [unrolled: 1-line block ×4, first 2 shown]
	v_add_f64_e64 v[75:76], v[48:49], -v[40:41]
	v_add_f64_e64 v[79:80], v[40:41], -v[48:49]
	;; [unrolled: 1-line block ×6, first 2 shown]
	v_add_f64_e32 v[101:102], v[7:8], v[22:23]
	v_add_f64_e32 v[103:104], v[9:10], v[26:27]
	v_add_f64_e64 v[105:106], v[46:47], -v[40:41]
	v_add_f64_e64 v[107:108], v[14:15], -v[18:19]
	;; [unrolled: 1-line block ×4, first 2 shown]
	v_add_f64_e32 v[52:53], v[24:25], v[44:45]
	v_add_f64_e32 v[54:55], v[22:23], v[28:29]
	;; [unrolled: 1-line block ×3, first 2 shown]
	v_add_f64_e64 v[99:100], v[28:29], -v[44:45]
	v_add_f64_e64 v[109:110], v[30:31], -v[32:33]
	v_add_f64_e32 v[71:72], v[26:27], v[34:35]
	v_add_f64_e32 v[46:47], v[85:86], v[46:47]
	;; [unrolled: 1-line block ×3, first 2 shown]
	v_add_f64_e64 v[113:114], v[34:35], -v[32:33]
	v_fma_f64 v[16:17], v[16:17], -0.5, v[89:90]
	v_fma_f64 v[38:39], v[38:39], -0.5, v[91:92]
	;; [unrolled: 1-line block ×4, first 2 shown]
	v_add_f64_e64 v[91:92], v[26:27], -v[34:35]
	v_add_f64_e64 v[89:90], v[24:25], -v[44:45]
	;; [unrolled: 1-line block ×3, first 2 shown]
	v_add_f64_e32 v[73:74], v[73:74], v[75:76]
	v_add_f64_e64 v[75:76], v[32:33], -v[34:35]
	v_add_f64_e32 v[77:78], v[77:78], v[79:80]
	v_add_f64_e32 v[79:80], v[81:82], v[83:84]
	;; [unrolled: 1-line block ×4, first 2 shown]
	v_fma_f64 v[52:53], v[52:53], -0.5, v[7:8]
	v_fma_f64 v[7:8], v[54:55], -0.5, v[7:8]
	v_add_f64_e64 v[54:55], v[22:23], -v[28:29]
	v_fma_f64 v[69:70], v[69:70], -0.5, v[9:10]
	v_add_f64_e64 v[22:23], v[24:25], -v[22:23]
	v_fma_f64 v[9:10], v[71:72], -0.5, v[9:10]
	v_add_f64_e64 v[71:72], v[44:45], -v[28:29]
	v_add_f64_e32 v[24:25], v[101:102], v[24:25]
	v_add_f64_e32 v[83:84], v[97:98], v[99:100]
	;; [unrolled: 1-line block ×4, first 2 shown]
	v_fma_f64 v[85:86], v[5:6], s[0:1], v[16:17]
	v_fma_f64 v[93:94], v[42:43], s[2:3], v[38:39]
	;; [unrolled: 1-line block ×8, first 2 shown]
	v_add_f64_e32 v[75:76], v[26:27], v[75:76]
	v_fma_f64 v[97:98], v[91:92], s[0:1], v[52:53]
	v_fma_f64 v[52:53], v[91:92], s[2:3], v[52:53]
	;; [unrolled: 1-line block ×8, first 2 shown]
	v_add_f64_e32 v[71:72], v[22:23], v[71:72]
	v_add_f64_e32 v[22:23], v[46:47], v[40:41]
	;; [unrolled: 1-line block ×4, first 2 shown]
	v_fma_f64 v[26:27], v[107:108], s[6:7], v[85:86]
	v_fma_f64 v[40:41], v[105:106], s[10:11], v[93:94]
	;; [unrolled: 1-line block ×16, first 2 shown]
	v_add_f64_e32 v[7:8], v[14:15], v[20:21]
	v_add_f64_e32 v[5:6], v[22:23], v[48:49]
	;; [unrolled: 1-line block ×4, first 2 shown]
	v_and_b32_e32 v69, 0xff, v56
	s_delay_alu instid0(VALU_DEP_1)
	v_mul_lo_u16 v11, 0xcd, v69
	v_fma_f64 v[20:21], v[73:74], s[12:13], v[26:27]
	v_fma_f64 v[22:23], v[79:80], s[12:13], v[40:41]
	;; [unrolled: 1-line block ×8, first 2 shown]
	v_lshrrev_b16 v15, 11, v11
	s_delay_alu instid0(VALU_DEP_1) | instskip(SKIP_1) | instid1(VALU_DEP_2)
	v_mul_lo_u16 v11, v15, 10
	v_and_b32_e32 v15, 0xffff, v15
	v_sub_nc_u16 v11, v56, v11
	s_delay_alu instid0(VALU_DEP_2)
	v_mul_u32_u24_e32 v15, 0x320, v15
	v_fma_f64 v[36:37], v[83:84], s[12:13], v[46:47]
	v_fma_f64 v[40:41], v[83:84], s[12:13], v[50:51]
	;; [unrolled: 1-line block ×8, first 2 shown]
	v_lshrrev_b32_e32 v10, 1, v56
	v_lshrrev_b32_e32 v9, 1, v61
	v_and_b32_e32 v14, 0xff, v11
	s_delay_alu instid0(VALU_DEP_3) | instskip(NEXT) | instid1(VALU_DEP_3)
	v_mul_u32_u24_e32 v10, 10, v10
	v_mul_lo_u32 v9, v9, 10
	s_delay_alu instid0(VALU_DEP_3) | instskip(SKIP_1) | instid1(VALU_DEP_4)
	v_lshlrev_b32_e32 v11, 6, v14
	v_lshlrev_b32_e32 v14, 4, v14
	v_or_b32_e32 v3, v10, v3
	s_delay_alu instid0(VALU_DEP_2) | instskip(SKIP_1) | instid1(VALU_DEP_3)
	v_add3_u32 v14, 0, v15, v14
	v_or_b32_e32 v4, v9, v4
	v_lshl_add_u32 v3, v3, 4, 0
	v_and_b32_e32 v9, 0xffff, v61
	s_delay_alu instid0(VALU_DEP_3)
	v_lshl_add_u32 v4, v4, 4, 0
	ds_store_b128 v3, v[5:8]
	ds_store_b128 v3, v[20:23] offset:32
	ds_store_b128 v3, v[28:31] offset:64
	;; [unrolled: 1-line block ×4, first 2 shown]
	ds_store_b128 v4, v[16:19]
	ds_store_b128 v4, v[36:39] offset:32
	ds_store_b128 v4, v[44:47] offset:64
	;; [unrolled: 1-line block ×4, first 2 shown]
	global_wb scope:SCOPE_SE
	s_wait_dscnt 0x0
	s_barrier_signal -1
	s_barrier_wait -1
	global_inv scope:SCOPE_SE
	global_load_b128 v[3:6], v11, s[4:5] offset:128
	v_mul_u32_u24_e32 v16, 0xcccd, v9
	global_load_b128 v[7:10], v11, s[4:5] offset:144
	v_lshrrev_b32_e32 v66, 19, v16
	s_delay_alu instid0(VALU_DEP_1) | instskip(NEXT) | instid1(VALU_DEP_1)
	v_mul_lo_u16 v16, v66, 10
	v_sub_nc_u16 v16, v61, v16
	s_delay_alu instid0(VALU_DEP_1) | instskip(NEXT) | instid1(VALU_DEP_1)
	v_and_b32_e32 v112, 0xffff, v16
	v_lshlrev_b32_e32 v36, 6, v112
	s_clause 0x5
	global_load_b128 v[16:19], v11, s[4:5] offset:160
	global_load_b128 v[20:23], v11, s[4:5] offset:176
	global_load_b128 v[24:27], v36, s[4:5] offset:128
	global_load_b128 v[28:31], v36, s[4:5] offset:144
	global_load_b128 v[32:35], v36, s[4:5] offset:160
	global_load_b128 v[36:39], v36, s[4:5] offset:176
	ds_load_b128 v[40:43], v0
	ds_load_b128 v[44:47], v2
	ds_load_b128 v[48:51], v65 offset:25200
	ds_load_b128 v[52:55], v1
	ds_load_b128 v[70:73], v65 offset:16800
	ds_load_b128 v[74:77], v65 offset:22400
	;; [unrolled: 1-line block ×5, first 2 shown]
	ds_load_b128 v[90:93], v65
	global_wb scope:SCOPE_SE
	s_wait_loadcnt_dscnt 0x0
	s_barrier_signal -1
	s_barrier_wait -1
	global_inv scope:SCOPE_SE
	v_mul_f64_e32 v[94:95], v[42:43], v[5:6]
	v_mul_f64_e32 v[5:6], v[40:41], v[5:6]
	;; [unrolled: 1-line block ×11, first 2 shown]
	v_fma_f64 v[40:41], v[40:41], v[3:4], v[94:95]
	v_fma_f64 v[2:3], v[42:43], v[3:4], -v[5:6]
	v_mul_f64_e32 v[4:5], v[82:83], v[30:31]
	v_mul_f64_e32 v[30:31], v[88:89], v[34:35]
	;; [unrolled: 1-line block ×4, first 2 shown]
	v_fma_f64 v[0:1], v[44:45], v[7:8], v[0:1]
	v_fma_f64 v[6:7], v[46:47], v[7:8], -v[9:10]
	v_mul_f64_e32 v[8:9], v[48:49], v[38:39]
	v_fma_f64 v[10:11], v[70:71], v[16:17], v[96:97]
	v_fma_f64 v[16:17], v[72:73], v[16:17], -v[18:19]
	v_fma_f64 v[38:39], v[74:75], v[20:21], v[98:99]
	v_fma_f64 v[18:19], v[76:77], v[20:21], -v[22:23]
	;; [unrolled: 2-line block ×3, first 2 shown]
	v_fma_f64 v[22:23], v[82:83], v[28:29], v[102:103]
	v_add_f64_e32 v[82:83], v[90:91], v[40:41]
	v_fma_f64 v[4:5], v[84:85], v[28:29], -v[4:5]
	v_fma_f64 v[30:31], v[86:87], v[32:33], v[30:31]
	v_fma_f64 v[26:27], v[48:49], v[36:37], v[42:43]
	v_fma_f64 v[28:29], v[88:89], v[32:33], -v[34:35]
	v_add_f64_e32 v[84:85], v[92:93], v[2:3]
	v_add_f64_e64 v[70:71], v[40:41], -v[0:1]
	v_fma_f64 v[8:9], v[50:51], v[36:37], -v[8:9]
	v_add_f64_e64 v[74:75], v[0:1], -v[40:41]
	v_add_f64_e64 v[78:79], v[2:3], -v[6:7]
	;; [unrolled: 1-line block ×3, first 2 shown]
	v_add_f64_e32 v[32:33], v[0:1], v[10:11]
	v_add_f64_e32 v[36:37], v[6:7], v[16:17]
	;; [unrolled: 1-line block ×4, first 2 shown]
	v_add_f64_e64 v[72:73], v[38:39], -v[10:11]
	v_add_f64_e64 v[76:77], v[10:11], -v[38:39]
	;; [unrolled: 1-line block ×4, first 2 shown]
	v_add_f64_e32 v[98:99], v[52:53], v[20:21]
	v_add_f64_e64 v[2:3], v[2:3], -v[18:19]
	v_add_f64_e64 v[104:105], v[6:7], -v[16:17]
	;; [unrolled: 1-line block ×4, first 2 shown]
	v_add_f64_e32 v[100:101], v[54:55], v[24:25]
	v_add_f64_e64 v[94:95], v[20:21], -v[22:23]
	v_add_f64_e32 v[0:1], v[82:83], v[0:1]
	v_add_f64_e64 v[108:109], v[24:25], -v[4:5]
	v_add_f64_e32 v[44:45], v[22:23], v[30:31]
	v_add_f64_e32 v[46:47], v[20:21], v[26:27]
	v_add_f64_e32 v[48:49], v[4:5], v[28:29]
	v_add_f64_e64 v[96:97], v[26:27], -v[30:31]
	v_add_f64_e64 v[106:107], v[4:5], -v[28:29]
	v_add_f64_e32 v[50:51], v[24:25], v[8:9]
	v_add_f64_e32 v[6:7], v[84:85], v[6:7]
	v_add_f64_e64 v[110:111], v[8:9], -v[28:29]
	v_fma_f64 v[32:33], v[32:33], -0.5, v[90:91]
	v_fma_f64 v[36:37], v[36:37], -0.5, v[92:93]
	;; [unrolled: 1-line block ×4, first 2 shown]
	v_add_f64_e64 v[92:93], v[24:25], -v[8:9]
	v_add_f64_e64 v[90:91], v[22:23], -v[30:31]
	;; [unrolled: 1-line block ×3, first 2 shown]
	v_add_f64_e32 v[70:71], v[70:71], v[72:73]
	v_add_f64_e64 v[72:73], v[28:29], -v[8:9]
	v_add_f64_e32 v[74:75], v[74:75], v[76:77]
	v_add_f64_e32 v[76:77], v[78:79], v[80:81]
	;; [unrolled: 1-line block ×5, first 2 shown]
	v_fma_f64 v[44:45], v[44:45], -0.5, v[52:53]
	v_fma_f64 v[46:47], v[46:47], -0.5, v[52:53]
	v_add_f64_e64 v[52:53], v[20:21], -v[26:27]
	v_fma_f64 v[48:49], v[48:49], -0.5, v[54:55]
	v_add_f64_e64 v[20:21], v[22:23], -v[20:21]
	v_fma_f64 v[50:51], v[50:51], -0.5, v[54:55]
	v_add_f64_e32 v[22:23], v[98:99], v[22:23]
	v_add_f64_e32 v[80:81], v[94:95], v[96:97]
	v_add_f64_e64 v[54:55], v[30:31], -v[26:27]
	v_add_f64_e32 v[6:7], v[6:7], v[16:17]
	v_add_f64_e32 v[108:109], v[108:109], v[110:111]
	v_fma_f64 v[82:83], v[2:3], s[0:1], v[32:33]
	v_fma_f64 v[86:87], v[40:41], s[2:3], v[36:37]
	;; [unrolled: 1-line block ×8, first 2 shown]
	v_add_f64_e32 v[72:73], v[24:25], v[72:73]
	v_add_f64_e32 v[4:5], v[4:5], v[28:29]
	;; [unrolled: 1-line block ×3, first 2 shown]
	v_fma_f64 v[94:95], v[92:93], s[0:1], v[44:45]
	v_fma_f64 v[96:97], v[106:107], s[2:3], v[46:47]
	;; [unrolled: 1-line block ×8, first 2 shown]
	v_add_f64_e32 v[10:11], v[22:23], v[30:31]
	v_add_f64_e32 v[54:55], v[20:21], v[54:55]
	;; [unrolled: 1-line block ×3, first 2 shown]
	v_cmp_gt_u32_e64 s0, 0x4b, v56
	v_fma_f64 v[24:25], v[104:105], s[6:7], v[82:83]
	v_fma_f64 v[30:31], v[2:3], s[6:7], v[84:85]
	;; [unrolled: 1-line block ×8, first 2 shown]
	v_add_f64_e32 v[22:23], v[4:5], v[8:9]
	v_fma_f64 v[42:43], v[106:107], s[6:7], v[94:95]
	v_fma_f64 v[86:87], v[92:93], s[6:7], v[96:97]
	;; [unrolled: 1-line block ×8, first 2 shown]
	v_add_f64_e32 v[20:21], v[10:11], v[26:27]
	v_fma_f64 v[24:25], v[70:71], s[12:13], v[24:25]
	v_fma_f64 v[32:33], v[74:75], s[12:13], v[30:31]
	v_fma_f64 v[36:37], v[74:75], s[12:13], v[2:3]
	v_fma_f64 v[26:27], v[76:77], s[12:13], v[34:35]
	v_fma_f64 v[34:35], v[78:79], s[12:13], v[84:85]
	v_fma_f64 v[38:39], v[78:79], s[12:13], v[40:41]
	v_fma_f64 v[28:29], v[70:71], s[12:13], v[28:29]
	v_fma_f64 v[30:31], v[76:77], s[12:13], v[82:83]
	v_fma_f64 v[40:41], v[80:81], s[12:13], v[42:43]
	v_fma_f64 v[0:1], v[54:55], s[12:13], v[86:87]
	v_fma_f64 v[4:5], v[54:55], s[12:13], v[46:47]
	v_fma_f64 v[42:43], v[108:109], s[12:13], v[88:89]
	v_fma_f64 v[8:9], v[80:81], s[12:13], v[44:45]
	v_fma_f64 v[2:3], v[72:73], s[12:13], v[92:93]
	v_fma_f64 v[6:7], v[72:73], s[12:13], v[50:51]
	v_fma_f64 v[10:11], v[108:109], s[12:13], v[48:49]
	v_mul_u32_u24_e32 v44, 0x320, v66
	v_lshlrev_b32_e32 v45, 4, v112
	v_add_nc_u32_e32 v66, v12, v13
	s_delay_alu instid0(VALU_DEP_2)
	v_add3_u32 v15, 0, v44, v45
	ds_store_b128 v14, v[16:19]
	ds_store_b128 v14, v[24:27] offset:160
	ds_store_b128 v14, v[32:35] offset:320
	;; [unrolled: 1-line block ×4, first 2 shown]
	ds_store_b128 v15, v[20:23]
	ds_store_b128 v15, v[40:43] offset:160
	ds_store_b128 v15, v[0:3] offset:320
	;; [unrolled: 1-line block ×4, first 2 shown]
	global_wb scope:SCOPE_SE
	s_wait_dscnt 0x0
	s_barrier_signal -1
	s_barrier_wait -1
	global_inv scope:SCOPE_SE
	ds_load_b128 v[28:31], v65
	ds_load_b128 v[48:51], v65 offset:4000
	ds_load_b128 v[44:47], v65 offset:8000
	;; [unrolled: 1-line block ×6, first 2 shown]
                                        ; implicit-def: $vgpr26_vgpr27
                                        ; implicit-def: $vgpr22_vgpr23
                                        ; implicit-def: $vgpr18_vgpr19
                                        ; implicit-def: $vgpr14_vgpr15
	s_and_saveexec_b32 s1, s0
	s_cbranch_execz .LBB0_15
; %bb.14:
	ds_load_b128 v[0:3], v66
	ds_load_b128 v[4:7], v65 offset:6800
	ds_load_b128 v[8:11], v65 offset:10800
	;; [unrolled: 1-line block ×6, first 2 shown]
.LBB0_15:
	s_wait_alu 0xfffe
	s_or_b32 exec_lo, exec_lo, s1
	v_mul_lo_u16 v69, v69, 41
	s_mov_b32 s6, 0x37e14327
	s_mov_b32 s10, 0xe976ee23
	;; [unrolled: 1-line block ×4, first 2 shown]
	v_lshrrev_b16 v105, 11, v69
	s_mov_b32 s2, 0x429ad128
	s_mov_b32 s3, 0xbfebfeb5
	;; [unrolled: 1-line block ×4, first 2 shown]
	v_mul_lo_u16 v69, v105, 50
	s_mov_b32 s12, 0xaaaaaaaa
	s_mov_b32 s20, 0xb247c609
	;; [unrolled: 1-line block ×4, first 2 shown]
	v_sub_nc_u16 v69, v56, v69
	s_mov_b32 s21, 0xbfd5d0dc
	s_mov_b32 s15, 0x3fe77f67
	;; [unrolled: 1-line block ×4, first 2 shown]
	v_and_b32_e32 v106, 0xff, v69
	s_wait_alu 0xfffe
	s_mov_b32 s18, s14
	s_mov_b32 s22, s20
	;; [unrolled: 1-line block ×4, first 2 shown]
	v_mul_u32_u24_e32 v69, 6, v106
	s_delay_alu instid0(VALU_DEP_1)
	v_lshlrev_b32_e32 v89, 4, v69
	s_clause 0x5
	global_load_b128 v[69:72], v89, s[4:5] offset:768
	global_load_b128 v[73:76], v89, s[4:5] offset:784
	;; [unrolled: 1-line block ×6, first 2 shown]
	global_wb scope:SCOPE_SE
	s_wait_loadcnt_dscnt 0x0
	s_barrier_signal -1
	s_barrier_wait -1
	global_inv scope:SCOPE_SE
	v_mul_f64_e32 v[93:94], v[50:51], v[71:72]
	v_mul_f64_e32 v[71:72], v[48:49], v[71:72]
	v_mul_f64_e32 v[95:96], v[46:47], v[75:76]
	v_mul_f64_e32 v[75:76], v[44:45], v[75:76]
	v_mul_f64_e32 v[97:98], v[54:55], v[79:80]
	v_mul_f64_e32 v[79:80], v[52:53], v[79:80]
	v_mul_f64_e32 v[99:100], v[42:43], v[83:84]
	v_mul_f64_e32 v[83:84], v[40:41], v[83:84]
	v_mul_f64_e32 v[101:102], v[38:39], v[87:88]
	v_mul_f64_e32 v[87:88], v[36:37], v[87:88]
	v_mul_f64_e32 v[103:104], v[34:35], v[91:92]
	v_mul_f64_e32 v[91:92], v[32:33], v[91:92]
	v_fma_f64 v[48:49], v[48:49], v[69:70], v[93:94]
	v_fma_f64 v[50:51], v[50:51], v[69:70], -v[71:72]
	v_fma_f64 v[44:45], v[44:45], v[73:74], v[95:96]
	v_fma_f64 v[46:47], v[46:47], v[73:74], -v[75:76]
	;; [unrolled: 2-line block ×6, first 2 shown]
	v_add_f64_e32 v[69:70], v[48:49], v[52:53]
	v_add_f64_e32 v[71:72], v[50:51], v[54:55]
	;; [unrolled: 1-line block ×4, first 2 shown]
	v_add_f64_e64 v[40:41], v[44:45], -v[40:41]
	v_add_f64_e64 v[42:43], v[46:47], -v[42:43]
	v_add_f64_e32 v[44:45], v[36:37], v[32:33]
	v_add_f64_e32 v[46:47], v[38:39], v[34:35]
	v_add_f64_e64 v[32:33], v[32:33], -v[36:37]
	v_add_f64_e64 v[34:35], v[34:35], -v[38:39]
	;; [unrolled: 1-line block ×4, first 2 shown]
	v_add_f64_e32 v[48:49], v[73:74], v[69:70]
	v_add_f64_e32 v[50:51], v[75:76], v[71:72]
	v_add_f64_e64 v[52:53], v[69:70], -v[44:45]
	v_add_f64_e64 v[54:55], v[71:72], -v[46:47]
	v_add_f64_e64 v[77:78], v[32:33], -v[40:41]
	v_add_f64_e64 v[79:80], v[34:35], -v[42:43]
	v_add_f64_e64 v[81:82], v[40:41], -v[36:37]
	v_add_f64_e64 v[83:84], v[42:43], -v[38:39]
	v_add_f64_e32 v[40:41], v[32:33], v[40:41]
	v_add_f64_e32 v[42:43], v[34:35], v[42:43]
	v_add_f64_e64 v[85:86], v[36:37], -v[32:33]
	v_add_f64_e64 v[87:88], v[38:39], -v[34:35]
	v_add_f64_e32 v[48:49], v[44:45], v[48:49]
	v_add_f64_e32 v[50:51], v[46:47], v[50:51]
	v_add_f64_e64 v[44:45], v[44:45], -v[73:74]
	v_add_f64_e64 v[46:47], v[46:47], -v[75:76]
	v_mul_f64_e32 v[52:53], s[6:7], v[52:53]
	v_mul_f64_e32 v[54:55], s[6:7], v[54:55]
	;; [unrolled: 1-line block ×6, first 2 shown]
	v_add_f64_e32 v[36:37], v[40:41], v[36:37]
	v_add_f64_e32 v[38:39], v[42:43], v[38:39]
	;; [unrolled: 1-line block ×4, first 2 shown]
	v_add_f64_e64 v[28:29], v[73:74], -v[69:70]
	v_add_f64_e64 v[30:31], v[75:76], -v[71:72]
	v_mul_f64_e32 v[69:70], s[16:17], v[44:45]
	v_mul_f64_e32 v[71:72], s[16:17], v[46:47]
	v_fma_f64 v[40:41], v[44:45], s[16:17], v[52:53]
	v_fma_f64 v[42:43], v[46:47], s[16:17], v[54:55]
	;; [unrolled: 1-line block ×4, first 2 shown]
	v_fma_f64 v[73:74], v[81:82], s[2:3], -v[77:78]
	v_fma_f64 v[75:76], v[83:84], s[2:3], -v[79:80]
	s_wait_alu 0xfffe
	v_fma_f64 v[77:78], v[85:86], s[22:23], -v[89:90]
	v_fma_f64 v[79:80], v[87:88], s[22:23], -v[91:92]
	v_fma_f64 v[48:49], v[48:49], s[12:13], v[32:33]
	v_fma_f64 v[50:51], v[50:51], s[12:13], v[34:35]
	v_fma_f64 v[52:53], v[28:29], s[18:19], -v[52:53]
	v_fma_f64 v[54:55], v[30:31], s[18:19], -v[54:55]
	;; [unrolled: 1-line block ×4, first 2 shown]
	v_fma_f64 v[71:72], v[36:37], s[24:25], v[44:45]
	v_fma_f64 v[69:70], v[38:39], s[24:25], v[46:47]
	;; [unrolled: 1-line block ×6, first 2 shown]
	v_add_f64_e32 v[81:82], v[40:41], v[48:49]
	v_add_f64_e32 v[83:84], v[42:43], v[50:51]
	;; [unrolled: 1-line block ×7, first 2 shown]
	v_add_f64_e64 v[38:39], v[83:84], -v[71:72]
	v_add_f64_e32 v[40:41], v[79:80], v[52:53]
	v_add_f64_e64 v[42:43], v[54:55], -v[77:78]
	v_add_f64_e64 v[44:45], v[28:29], -v[75:76]
	v_add_f64_e32 v[46:47], v[73:74], v[30:31]
	v_add_f64_e32 v[48:49], v[75:76], v[28:29]
	v_add_f64_e64 v[50:51], v[30:31], -v[73:74]
	v_add_f64_e64 v[52:53], v[52:53], -v[79:80]
	v_add_f64_e32 v[54:55], v[77:78], v[54:55]
	v_add_f64_e64 v[69:70], v[81:82], -v[69:70]
	v_add_f64_e32 v[71:72], v[71:72], v[83:84]
	v_and_b32_e32 v28, 0xffff, v105
	v_lshlrev_b32_e32 v31, 4, v106
	v_sub_nc_u32_e32 v29, 0, v68
	s_delay_alu instid0(VALU_DEP_3) | instskip(SKIP_1) | instid1(VALU_DEP_2)
	v_mul_u32_u24_e32 v30, 0x15e0, v28
	v_sub_nc_u32_e32 v28, 0, v67
	v_add3_u32 v30, 0, v30, v31
	ds_store_b128 v30, v[32:35]
	ds_store_b128 v30, v[36:39] offset:800
	ds_store_b128 v30, v[40:43] offset:1600
	;; [unrolled: 1-line block ×6, first 2 shown]
	s_and_saveexec_b32 s1, s0
	s_cbranch_execz .LBB0_17
; %bb.16:
	v_lshrrev_b16 v30, 1, v61
	s_delay_alu instid0(VALU_DEP_1) | instskip(NEXT) | instid1(VALU_DEP_1)
	v_and_b32_e32 v30, 0xffff, v30
	v_mul_u32_u24_e32 v30, 0x147b, v30
	s_delay_alu instid0(VALU_DEP_1) | instskip(NEXT) | instid1(VALU_DEP_1)
	v_lshrrev_b32_e32 v30, 17, v30
	v_mul_lo_u16 v30, v30, 50
	s_delay_alu instid0(VALU_DEP_1) | instskip(NEXT) | instid1(VALU_DEP_1)
	v_sub_nc_u16 v30, v61, v30
	v_and_b32_e32 v77, 0xffff, v30
	s_delay_alu instid0(VALU_DEP_1) | instskip(NEXT) | instid1(VALU_DEP_1)
	v_mul_u32_u24_e32 v30, 6, v77
	v_lshlrev_b32_e32 v50, 4, v30
	s_clause 0x5
	global_load_b128 v[30:33], v50, s[4:5] offset:784
	global_load_b128 v[34:37], v50, s[4:5] offset:832
	;; [unrolled: 1-line block ×6, first 2 shown]
	s_wait_loadcnt 0x5
	v_mul_f64_e32 v[54:55], v[8:9], v[32:33]
	s_wait_loadcnt 0x4
	v_mul_f64_e32 v[67:68], v[20:21], v[36:37]
	;; [unrolled: 2-line block ×4, first 2 shown]
	v_mul_f64_e32 v[32:33], v[10:11], v[32:33]
	v_mul_f64_e32 v[36:37], v[22:23], v[36:37]
	;; [unrolled: 1-line block ×4, first 2 shown]
	s_wait_loadcnt 0x1
	v_mul_f64_e32 v[73:74], v[18:19], v[48:49]
	s_wait_loadcnt 0x0
	v_mul_f64_e32 v[75:76], v[14:15], v[52:53]
	v_mul_f64_e32 v[52:53], v[12:13], v[52:53]
	;; [unrolled: 1-line block ×3, first 2 shown]
	v_fma_f64 v[10:11], v[10:11], v[30:31], -v[54:55]
	v_fma_f64 v[22:23], v[22:23], v[34:35], -v[67:68]
	;; [unrolled: 1-line block ×4, first 2 shown]
	v_fma_f64 v[8:9], v[8:9], v[30:31], v[32:33]
	v_fma_f64 v[20:21], v[20:21], v[34:35], v[36:37]
	;; [unrolled: 1-line block ×6, first 2 shown]
	v_fma_f64 v[14:15], v[14:15], v[50:51], -v[52:53]
	v_fma_f64 v[18:19], v[18:19], v[46:47], -v[48:49]
	v_add_f64_e32 v[30:31], v[10:11], v[22:23]
	v_add_f64_e64 v[10:11], v[10:11], -v[22:23]
	v_add_f64_e32 v[32:33], v[6:7], v[26:27]
	v_add_f64_e64 v[6:7], v[6:7], -v[26:27]
	;; [unrolled: 2-line block ×4, first 2 shown]
	v_add_f64_e64 v[38:39], v[16:17], -v[12:13]
	v_add_f64_e32 v[12:13], v[12:13], v[16:17]
	v_add_f64_e32 v[20:21], v[14:15], v[18:19]
	v_add_f64_e64 v[14:15], v[18:19], -v[14:15]
	v_add_f64_e32 v[16:17], v[30:31], v[32:33]
	v_add_f64_e64 v[44:45], v[10:11], -v[6:7]
	v_add_f64_e32 v[18:19], v[34:35], v[36:37]
	v_add_f64_e64 v[40:41], v[8:9], -v[4:5]
	v_add_f64_e64 v[22:23], v[38:39], -v[8:9]
	v_add_f64_e64 v[26:27], v[36:37], -v[12:13]
	;; [unrolled: 1-line block ×4, first 2 shown]
	v_add_f64_e32 v[8:9], v[38:39], v[8:9]
	v_add_f64_e64 v[38:39], v[4:5], -v[38:39]
	v_add_f64_e32 v[10:11], v[14:15], v[10:11]
	v_add_f64_e64 v[14:15], v[6:7], -v[14:15]
	;; [unrolled: 2-line block ×3, first 2 shown]
	v_add_f64_e64 v[30:31], v[30:31], -v[32:33]
	v_mul_f64_e32 v[48:49], s[2:3], v[44:45]
	v_add_f64_e32 v[18:19], v[12:13], v[18:19]
	v_add_f64_e64 v[12:13], v[12:13], -v[34:35]
	v_mul_f64_e32 v[22:23], s[10:11], v[22:23]
	v_mul_f64_e32 v[26:27], s[6:7], v[26:27]
	;; [unrolled: 1-line block ×5, first 2 shown]
	v_add_f64_e64 v[34:35], v[34:35], -v[36:37]
	v_add_f64_e32 v[4:5], v[8:9], v[4:5]
	v_add_f64_e32 v[6:7], v[10:11], v[6:7]
	;; [unrolled: 1-line block ×3, first 2 shown]
	v_mul_f64_e32 v[32:33], s[16:17], v[20:21]
	v_add_f64_e32 v[0:1], v[0:1], v[18:19]
	v_mul_f64_e32 v[36:37], s[16:17], v[12:13]
	v_fma_f64 v[8:9], v[38:39], s[20:21], v[22:23]
	v_fma_f64 v[12:13], v[12:13], s[16:17], v[26:27]
	;; [unrolled: 1-line block ×3, first 2 shown]
	v_fma_f64 v[20:21], v[38:39], s[22:23], -v[46:47]
	v_fma_f64 v[22:23], v[40:41], s[2:3], -v[22:23]
	;; [unrolled: 1-line block ×5, first 2 shown]
	v_fma_f64 v[16:17], v[16:17], s[12:13], v[2:3]
	v_fma_f64 v[30:31], v[30:31], s[14:15], -v[32:33]
	v_fma_f64 v[32:33], v[14:15], s[20:21], v[42:43]
	v_fma_f64 v[14:15], v[14:15], s[22:23], -v[48:49]
	v_fma_f64 v[18:19], v[18:19], s[12:13], v[0:1]
	v_fma_f64 v[34:35], v[34:35], s[14:15], -v[36:37]
	v_fma_f64 v[8:9], v[4:5], s[24:25], v[8:9]
	v_fma_f64 v[20:21], v[4:5], s[24:25], v[20:21]
	;; [unrolled: 1-line block ×4, first 2 shown]
	v_add_f64_e32 v[36:37], v[10:11], v[16:17]
	v_add_f64_e32 v[22:23], v[24:25], v[16:17]
	;; [unrolled: 1-line block ×3, first 2 shown]
	v_fma_f64 v[30:31], v[6:7], s[24:25], v[32:33]
	v_add_f64_e32 v[40:41], v[12:13], v[18:19]
	v_fma_f64 v[32:33], v[6:7], s[24:25], v[14:15]
	v_add_f64_e32 v[42:43], v[26:27], v[18:19]
	v_add_f64_e32 v[12:13], v[34:35], v[18:19]
	v_add_f64_e64 v[26:27], v[36:37], -v[8:9]
	v_add_f64_e32 v[10:11], v[20:21], v[22:23]
	v_add_f64_e64 v[22:23], v[22:23], -v[20:21]
	v_add_f64_e64 v[14:15], v[16:17], -v[4:5]
	v_add_f64_e32 v[24:25], v[30:31], v[40:41]
	v_add_f64_e32 v[18:19], v[4:5], v[16:17]
	;; [unrolled: 1-line block ×3, first 2 shown]
	v_add_f64_e64 v[16:17], v[12:13], -v[38:39]
	v_add_f64_e32 v[12:13], v[38:39], v[12:13]
	v_add_f64_e32 v[6:7], v[8:9], v[36:37]
	v_add_f64_e64 v[8:9], v[42:43], -v[32:33]
	v_add_f64_e64 v[4:5], v[40:41], -v[30:31]
	v_and_b32_e32 v30, 0xff, v61
	v_lshlrev_b32_e32 v31, 4, v77
	s_delay_alu instid0(VALU_DEP_2) | instskip(NEXT) | instid1(VALU_DEP_1)
	v_mul_lo_u16 v30, v30, 41
	v_lshrrev_b16 v30, 11, v30
	s_delay_alu instid0(VALU_DEP_1) | instskip(NEXT) | instid1(VALU_DEP_1)
	v_and_b32_e32 v30, 0xffff, v30
	v_mul_u32_u24_e32 v30, 0x15e0, v30
	s_delay_alu instid0(VALU_DEP_1)
	v_add3_u32 v30, 0, v30, v31
	ds_store_b128 v30, v[0:3]
	ds_store_b128 v30, v[24:27] offset:800
	ds_store_b128 v30, v[20:23] offset:1600
	;; [unrolled: 1-line block ×6, first 2 shown]
.LBB0_17:
	s_wait_alu 0xfffe
	s_or_b32 exec_lo, exec_lo, s1
	v_dual_mov_b32 v2, 0 :: v_dual_lshlrev_b32 v1, 2, v56
	global_wb scope:SCOPE_SE
	s_wait_dscnt 0x0
	s_barrier_signal -1
	s_barrier_wait -1
	global_inv scope:SCOPE_SE
	v_lshlrev_b64_e32 v[3:4], 4, v[1:2]
	v_lshlrev_b32_e32 v1, 2, v61
	v_add_nc_u32_e32 v15, v62, v28
	v_add_nc_u32_e32 v14, v64, v29
	s_mov_b32 s3, 0x3fee6f0e
	s_delay_alu instid0(VALU_DEP_3)
	v_lshlrev_b64_e32 v[0:1], 4, v[1:2]
	v_add_co_u32 v11, s0, s4, v3
	s_wait_alu 0xf1ff
	v_add_co_ci_u32_e64 v12, s0, s5, v4, s0
	s_clause 0x2
	global_load_b128 v[3:6], v[11:12], off offset:5600
	global_load_b128 v[7:10], v[11:12], off offset:5584
	;; [unrolled: 1-line block ×3, first 2 shown]
	v_add_co_u32 v0, s0, s4, v0
	s_wait_alu 0xf1ff
	v_add_co_ci_u32_e64 v1, s0, s5, v1, s0
	s_clause 0x4
	global_load_b128 v[20:23], v[11:12], off offset:5616
	global_load_b128 v[24:27], v[0:1], off offset:5568
	;; [unrolled: 1-line block ×5, first 2 shown]
	ds_load_b128 v[42:45], v15
	ds_load_b128 v[46:49], v14
	ds_load_b128 v[50:53], v65 offset:16800
	ds_load_b128 v[67:70], v65 offset:22400
	;; [unrolled: 1-line block ×6, first 2 shown]
	ds_load_b128 v[87:90], v65
	s_mov_b32 s0, 0x134454ff
	s_mov_b32 s1, 0xbfee6f0e
	s_wait_alu 0xfffe
	s_mov_b32 s2, s0
	s_wait_loadcnt_dscnt 0x706
	v_mul_f64_e32 v[28:29], v[52:53], v[5:6]
	s_wait_loadcnt 0x6
	v_mul_f64_e32 v[11:12], v[48:49], v[9:10]
	v_mul_f64_e32 v[9:10], v[46:47], v[9:10]
	;; [unrolled: 1-line block ×3, first 2 shown]
	s_wait_loadcnt 0x5
	v_mul_f64_e32 v[0:1], v[44:45], v[18:19]
	v_mul_f64_e32 v[18:19], v[42:43], v[18:19]
	s_wait_loadcnt_dscnt 0x405
	v_mul_f64_e32 v[54:55], v[69:70], v[22:23]
	v_mul_f64_e32 v[22:23], v[67:68], v[22:23]
	s_wait_loadcnt_dscnt 0x203
	v_mul_f64_e32 v[93:94], v[77:78], v[32:33]
	s_wait_loadcnt_dscnt 0x102
	v_mul_f64_e32 v[95:96], v[81:82], v[36:37]
	v_mul_f64_e32 v[32:33], v[75:76], v[32:33]
	v_mul_f64_e32 v[36:37], v[79:80], v[36:37]
	v_mul_f64_e32 v[91:92], v[73:74], v[26:27]
	v_mul_f64_e32 v[26:27], v[71:72], v[26:27]
	s_wait_loadcnt_dscnt 0x1
	v_mul_f64_e32 v[97:98], v[85:86], v[40:41]
	v_mul_f64_e32 v[40:41], v[83:84], v[40:41]
	v_fma_f64 v[28:29], v[50:51], v[3:4], v[28:29]
	v_fma_f64 v[11:12], v[46:47], v[7:8], v[11:12]
	v_fma_f64 v[7:8], v[48:49], v[7:8], -v[9:10]
	v_fma_f64 v[9:10], v[52:53], v[3:4], -v[5:6]
	v_fma_f64 v[0:1], v[42:43], v[16:17], v[0:1]
	v_fma_f64 v[16:17], v[44:45], v[16:17], -v[18:19]
	v_fma_f64 v[18:19], v[67:68], v[20:21], v[54:55]
	;; [unrolled: 2-line block ×3, first 2 shown]
	v_fma_f64 v[44:45], v[79:80], v[34:35], v[95:96]
	v_fma_f64 v[30:31], v[77:78], v[30:31], -v[32:33]
	v_fma_f64 v[32:33], v[81:82], v[34:35], -v[36:37]
	v_fma_f64 v[22:23], v[71:72], v[24:25], v[91:92]
	v_fma_f64 v[24:25], v[73:74], v[24:25], -v[26:27]
	v_fma_f64 v[26:27], v[83:84], v[38:39], v[97:98]
	v_fma_f64 v[34:35], v[85:86], v[38:39], -v[40:41]
	ds_load_b128 v[3:6], v66
	global_wb scope:SCOPE_SE
	s_wait_dscnt 0x0
	s_barrier_signal -1
	s_barrier_wait -1
	global_inv scope:SCOPE_SE
	v_add_f64_e32 v[36:37], v[11:12], v[28:29]
	v_add_f64_e64 v[81:82], v[11:12], -v[28:29]
	v_add_f64_e32 v[40:41], v[7:8], v[9:10]
	v_add_f64_e32 v[67:68], v[87:88], v[0:1]
	v_add_f64_e32 v[73:74], v[89:90], v[16:17]
	v_add_f64_e32 v[38:39], v[0:1], v[18:19]
	v_add_f64_e32 v[46:47], v[16:17], v[20:21]
	v_add_f64_e64 v[69:70], v[16:17], -v[20:21]
	v_add_f64_e32 v[48:49], v[42:43], v[44:45]
	v_add_f64_e64 v[79:80], v[0:1], -v[18:19]
	v_add_f64_e32 v[52:53], v[30:31], v[32:33]
	v_add_f64_e32 v[75:76], v[3:4], v[22:23]
	;; [unrolled: 1-line block ×5, first 2 shown]
	v_add_f64_e64 v[71:72], v[7:8], -v[9:10]
	v_add_f64_e64 v[83:84], v[24:25], -v[34:35]
	;; [unrolled: 1-line block ×15, first 2 shown]
	v_fma_f64 v[36:37], v[36:37], -0.5, v[87:88]
	v_fma_f64 v[40:41], v[40:41], -0.5, v[89:90]
	v_add_f64_e32 v[7:8], v[73:74], v[7:8]
	v_fma_f64 v[38:39], v[38:39], -0.5, v[87:88]
	v_fma_f64 v[46:47], v[46:47], -0.5, v[89:90]
	v_add_f64_e64 v[87:88], v[22:23], -v[26:27]
	v_fma_f64 v[48:49], v[48:49], -0.5, v[3:4]
	v_add_f64_e64 v[89:90], v[18:19], -v[28:29]
	;; [unrolled: 2-line block ×3, first 2 shown]
	v_add_f64_e32 v[30:31], v[77:78], v[30:31]
	v_fma_f64 v[3:4], v[50:51], -0.5, v[3:4]
	v_add_f64_e64 v[50:51], v[42:43], -v[44:45]
	v_fma_f64 v[5:6], v[54:55], -0.5, v[5:6]
	v_add_f64_e64 v[54:55], v[0:1], -v[11:12]
	v_add_f64_e64 v[0:1], v[11:12], -v[0:1]
	v_add_f64_e32 v[11:12], v[67:68], v[11:12]
	v_add_f64_e32 v[42:43], v[75:76], v[42:43]
	v_fma_f64 v[67:68], v[69:70], s[0:1], v[36:37]
	s_wait_alu 0xfffe
	v_fma_f64 v[36:37], v[69:70], s[2:3], v[36:37]
	v_fma_f64 v[75:76], v[79:80], s[2:3], v[40:41]
	;; [unrolled: 1-line block ×3, first 2 shown]
	v_add_f64_e32 v[7:8], v[7:8], v[9:10]
	v_fma_f64 v[73:74], v[71:72], s[2:3], v[38:39]
	v_fma_f64 v[38:39], v[71:72], s[0:1], v[38:39]
	;; [unrolled: 1-line block ×12, first 2 shown]
	s_mov_b32 s0, 0x4755a5e
	s_mov_b32 s1, 0xbfe2cf23
	;; [unrolled: 1-line block ×3, first 2 shown]
	s_wait_alu 0xfffe
	s_mov_b32 s2, s0
	v_add_f64_e32 v[11:12], v[11:12], v[28:29]
	v_add_f64_e32 v[54:55], v[54:55], v[89:90]
	v_add_f64_e32 v[0:1], v[0:1], v[91:92]
	v_add_f64_e32 v[89:90], v[93:94], v[95:96]
	v_add_f64_e32 v[91:92], v[16:17], v[97:98]
	v_add_f64_e32 v[95:96], v[22:23], v[103:104]
	v_add_f64_e32 v[9:10], v[42:43], v[44:45]
	v_add_f64_e32 v[16:17], v[30:31], v[32:33]
	v_add_f64_e32 v[93:94], v[99:100], v[101:102]
	v_add_f64_e32 v[99:100], v[24:25], v[109:110]
	v_add_f64_e32 v[97:98], v[105:106], v[107:108]
	v_fma_f64 v[22:23], v[71:72], s[0:1], v[67:68]
	s_wait_alu 0xfffe
	v_fma_f64 v[24:25], v[71:72], s[2:3], v[36:37]
	v_fma_f64 v[32:33], v[81:82], s[2:3], v[75:76]
	;; [unrolled: 1-line block ×15, first 2 shown]
	s_mov_b32 s0, 0x372fe950
	s_mov_b32 s1, 0x3fd3c6ef
	v_add_f64_e32 v[5:6], v[7:8], v[20:21]
	v_add_f64_e32 v[3:4], v[11:12], v[18:19]
                                        ; implicit-def: $vgpr12_vgpr13
	v_add_f64_e32 v[7:8], v[9:10], v[26:27]
	v_add_f64_e32 v[9:10], v[16:17], v[34:35]
	s_wait_alu 0xfffe
	v_fma_f64 v[16:17], v[54:55], s[0:1], v[22:23]
	v_fma_f64 v[20:21], v[54:55], s[0:1], v[24:25]
	v_fma_f64 v[18:19], v[89:90], s[0:1], v[32:33]
	v_fma_f64 v[22:23], v[89:90], s[0:1], v[36:37]
	v_fma_f64 v[24:25], v[0:1], s[0:1], v[28:29]
	v_fma_f64 v[28:29], v[0:1], s[0:1], v[30:31]
	v_fma_f64 v[26:27], v[91:92], s[0:1], v[38:39]
	v_fma_f64 v[30:31], v[91:92], s[0:1], v[40:41]
	v_fma_f64 v[32:33], v[93:94], s[0:1], v[42:43]
	v_fma_f64 v[34:35], v[97:98], s[0:1], v[67:68]
	v_fma_f64 v[36:37], v[93:94], s[0:1], v[44:45]
	v_fma_f64 v[38:39], v[97:98], s[0:1], v[50:51]
	v_fma_f64 v[40:41], v[95:96], s[0:1], v[46:47]
	v_fma_f64 v[44:45], v[95:96], s[0:1], v[48:49]
	v_fma_f64 v[42:43], v[99:100], s[0:1], v[69:70]
	v_fma_f64 v[46:47], v[99:100], s[0:1], v[71:72]
	s_mov_b32 s1, exec_lo
                                        ; implicit-def: $vgpr0_vgpr1
	ds_store_b128 v65, v[3:6]
	ds_store_b128 v65, v[16:19] offset:5600
	ds_store_b128 v65, v[24:27] offset:11200
	;; [unrolled: 1-line block ×4, first 2 shown]
	ds_store_b128 v66, v[7:10]
	ds_store_b128 v66, v[32:35] offset:5600
	ds_store_b128 v66, v[40:43] offset:11200
	;; [unrolled: 1-line block ×4, first 2 shown]
	global_wb scope:SCOPE_SE
	s_wait_dscnt 0x0
	s_barrier_signal -1
	s_barrier_wait -1
	global_inv scope:SCOPE_SE
	ds_load_b128 v[4:7], v65
	v_sub_nc_u32_e32 v16, 0, v57
                                        ; implicit-def: $vgpr10_vgpr11
                                        ; implicit-def: $vgpr8_vgpr9
	v_cmpx_ne_u32_e32 0, v56
	s_wait_alu 0xfffe
	s_xor_b32 s1, exec_lo, s1
	s_cbranch_execz .LBB0_19
; %bb.18:
	v_mov_b32_e32 v57, v2
	s_delay_alu instid0(VALU_DEP_1) | instskip(NEXT) | instid1(VALU_DEP_1)
	v_lshlrev_b64_e32 v[0:1], 4, v[56:57]
	v_add_co_u32 v0, s0, s4, v0
	s_wait_alu 0xf1ff
	s_delay_alu instid0(VALU_DEP_2)
	v_add_co_ci_u32_e64 v1, s0, s5, v1, s0
	global_load_b128 v[8:11], v[0:1], off offset:27968
	ds_load_b128 v[0:3], v16 offset:28000
	s_wait_dscnt 0x0
	v_add_f64_e64 v[12:13], v[4:5], -v[0:1]
	v_add_f64_e32 v[17:18], v[6:7], v[2:3]
	v_add_f64_e64 v[2:3], v[6:7], -v[2:3]
	v_add_f64_e32 v[0:1], v[4:5], v[0:1]
	s_delay_alu instid0(VALU_DEP_4) | instskip(NEXT) | instid1(VALU_DEP_4)
	v_mul_f64_e32 v[6:7], 0.5, v[12:13]
	v_mul_f64_e32 v[4:5], 0.5, v[17:18]
	s_delay_alu instid0(VALU_DEP_4) | instskip(SKIP_1) | instid1(VALU_DEP_3)
	v_mul_f64_e32 v[2:3], 0.5, v[2:3]
	s_wait_loadcnt 0x0
	v_mul_f64_e32 v[12:13], v[6:7], v[10:11]
	s_delay_alu instid0(VALU_DEP_2) | instskip(SKIP_1) | instid1(VALU_DEP_3)
	v_fma_f64 v[17:18], v[4:5], v[10:11], v[2:3]
	v_fma_f64 v[2:3], v[4:5], v[10:11], -v[2:3]
	v_fma_f64 v[19:20], v[0:1], 0.5, v[12:13]
	v_fma_f64 v[0:1], v[0:1], 0.5, -v[12:13]
	s_delay_alu instid0(VALU_DEP_4) | instskip(NEXT) | instid1(VALU_DEP_4)
	v_fma_f64 v[12:13], -v[8:9], v[6:7], v[17:18]
	v_fma_f64 v[2:3], -v[8:9], v[6:7], v[2:3]
	s_delay_alu instid0(VALU_DEP_4) | instskip(NEXT) | instid1(VALU_DEP_4)
	v_fma_f64 v[10:11], v[4:5], v[8:9], v[19:20]
	v_fma_f64 v[0:1], -v[4:5], v[8:9], v[0:1]
	v_dual_mov_b32 v8, v56 :: v_dual_mov_b32 v9, v57
                                        ; implicit-def: $vgpr4_vgpr5
.LBB0_19:
	s_wait_alu 0xfffe
	s_and_not1_saveexec_b32 s0, s1
	s_cbranch_execz .LBB0_21
; %bb.20:
	s_wait_dscnt 0x0
	v_add_f64_e32 v[10:11], v[4:5], v[6:7]
	v_add_f64_e64 v[0:1], v[4:5], -v[6:7]
	v_mov_b32_e32 v6, 0
	v_mov_b32_e32 v12, 0
	v_dual_mov_b32 v13, 0 :: v_dual_mov_b32 v8, 0
	s_delay_alu instid0(VALU_DEP_2)
	v_mov_b32_e32 v2, v12
	ds_load_b64 v[4:5], v6 offset:14008
	v_mov_b32_e32 v9, 0
	v_mov_b32_e32 v3, v13
	s_wait_dscnt 0x0
	v_xor_b32_e32 v5, 0x80000000, v5
	ds_store_b64 v6, v[4:5] offset:14008
.LBB0_21:
	s_wait_alu 0xfffe
	s_or_b32 exec_lo, exec_lo, s0
	v_mov_b32_e32 v62, 0
	s_wait_dscnt 0x0
	s_delay_alu instid0(VALU_DEP_1) | instskip(SKIP_1) | instid1(VALU_DEP_1)
	v_lshlrev_b64_e32 v[4:5], 4, v[61:62]
	v_dual_mov_b32 v64, v62 :: v_dual_mov_b32 v61, v62
	v_lshlrev_b64_e32 v[17:18], 4, v[63:64]
	s_delay_alu instid0(VALU_DEP_3) | instskip(SKIP_1) | instid1(VALU_DEP_4)
	v_add_co_u32 v4, s0, s4, v4
	s_wait_alu 0xf1ff
	v_add_co_ci_u32_e64 v5, s0, s5, v5, s0
	s_delay_alu instid0(VALU_DEP_3)
	v_add_co_u32 v17, s0, s4, v17
	global_load_b128 v[4:7], v[4:5], off offset:27968
	s_wait_alu 0xf1ff
	v_add_co_ci_u32_e64 v18, s0, s5, v18, s0
	s_add_nc_u64 s[0:1], s[4:5], 0x6d40
	global_load_b128 v[17:20], v[17:18], off offset:27968
	ds_store_2addr_b64 v65, v[10:11], v[12:13] offset1:1
	ds_store_b128 v16, v[0:3] offset:28000
	ds_load_b128 v[0:3], v66
	ds_load_b128 v[10:13], v16 offset:25200
	s_wait_dscnt 0x0
	v_add_f64_e64 v[21:22], v[0:1], -v[10:11]
	v_add_f64_e32 v[23:24], v[2:3], v[12:13]
	v_add_f64_e64 v[2:3], v[2:3], -v[12:13]
	v_add_f64_e32 v[0:1], v[0:1], v[10:11]
	s_delay_alu instid0(VALU_DEP_4) | instskip(NEXT) | instid1(VALU_DEP_4)
	v_mul_f64_e32 v[12:13], 0.5, v[21:22]
	v_mul_f64_e32 v[21:22], 0.5, v[23:24]
	s_delay_alu instid0(VALU_DEP_4) | instskip(SKIP_1) | instid1(VALU_DEP_3)
	v_mul_f64_e32 v[2:3], 0.5, v[2:3]
	s_wait_loadcnt 0x1
	v_mul_f64_e32 v[10:11], v[12:13], v[6:7]
	s_delay_alu instid0(VALU_DEP_2) | instskip(SKIP_1) | instid1(VALU_DEP_3)
	v_fma_f64 v[23:24], v[21:22], v[6:7], v[2:3]
	v_fma_f64 v[2:3], v[21:22], v[6:7], -v[2:3]
	v_fma_f64 v[6:7], v[0:1], 0.5, v[10:11]
	v_fma_f64 v[0:1], v[0:1], 0.5, -v[10:11]
	s_delay_alu instid0(VALU_DEP_4) | instskip(NEXT) | instid1(VALU_DEP_4)
	v_fma_f64 v[10:11], -v[4:5], v[12:13], v[23:24]
	v_fma_f64 v[12:13], -v[4:5], v[12:13], v[2:3]
	s_delay_alu instid0(VALU_DEP_4) | instskip(NEXT) | instid1(VALU_DEP_4)
	v_fma_f64 v[6:7], v[21:22], v[4:5], v[6:7]
	v_fma_f64 v[21:22], -v[21:22], v[4:5], v[0:1]
	v_lshlrev_b64_e32 v[0:1], 4, v[8:9]
	s_wait_alu 0xfffe
	s_delay_alu instid0(VALU_DEP_1) | instskip(SKIP_1) | instid1(VALU_DEP_2)
	v_add_co_u32 v2, s0, s0, v0
	s_wait_alu 0xf1ff
	v_add_co_ci_u32_e64 v3, s0, s1, v1, s0
	global_load_b128 v[2:5], v[2:3], off offset:8400
	ds_store_b64 v66, v[10:11] offset:8
	ds_store_b64 v16, v[12:13] offset:25208
	ds_store_b64 v66, v[6:7]
	ds_store_b64 v16, v[21:22] offset:25200
	ds_load_b128 v[6:9], v15
	ds_load_b128 v[10:13], v16 offset:22400
	s_wait_dscnt 0x0
	v_add_f64_e64 v[21:22], v[6:7], -v[10:11]
	v_add_f64_e32 v[23:24], v[8:9], v[12:13]
	v_add_f64_e64 v[8:9], v[8:9], -v[12:13]
	v_add_f64_e32 v[6:7], v[6:7], v[10:11]
	s_delay_alu instid0(VALU_DEP_4) | instskip(NEXT) | instid1(VALU_DEP_4)
	v_mul_f64_e32 v[12:13], 0.5, v[21:22]
	v_mul_f64_e32 v[21:22], 0.5, v[23:24]
	s_delay_alu instid0(VALU_DEP_4) | instskip(SKIP_1) | instid1(VALU_DEP_3)
	v_mul_f64_e32 v[8:9], 0.5, v[8:9]
	s_wait_loadcnt 0x1
	v_mul_f64_e32 v[10:11], v[12:13], v[19:20]
	s_delay_alu instid0(VALU_DEP_2) | instskip(SKIP_1) | instid1(VALU_DEP_3)
	v_fma_f64 v[23:24], v[21:22], v[19:20], v[8:9]
	v_fma_f64 v[8:9], v[21:22], v[19:20], -v[8:9]
	v_fma_f64 v[19:20], v[6:7], 0.5, v[10:11]
	v_fma_f64 v[6:7], v[6:7], 0.5, -v[10:11]
	s_delay_alu instid0(VALU_DEP_4) | instskip(NEXT) | instid1(VALU_DEP_4)
	v_fma_f64 v[10:11], -v[17:18], v[12:13], v[23:24]
	v_fma_f64 v[12:13], -v[17:18], v[12:13], v[8:9]
	s_delay_alu instid0(VALU_DEP_4) | instskip(NEXT) | instid1(VALU_DEP_4)
	v_fma_f64 v[19:20], v[21:22], v[17:18], v[19:20]
	v_fma_f64 v[17:18], -v[21:22], v[17:18], v[6:7]
	v_lshlrev_b64_e32 v[6:7], 4, v[60:61]
	s_delay_alu instid0(VALU_DEP_1) | instskip(SKIP_1) | instid1(VALU_DEP_2)
	v_add_co_u32 v6, s0, s4, v6
	s_wait_alu 0xf1ff
	v_add_co_ci_u32_e64 v7, s0, s5, v7, s0
	global_load_b128 v[6:9], v[6:7], off offset:27968
	ds_store_b64 v15, v[10:11] offset:8
	ds_store_b64 v16, v[12:13] offset:22408
	ds_store_b64 v15, v[19:20]
	ds_store_b64 v16, v[17:18] offset:22400
	ds_load_b128 v[10:13], v65 offset:8400
	ds_load_b128 v[17:20], v16 offset:19600
	s_wait_dscnt 0x0
	v_add_f64_e64 v[21:22], v[10:11], -v[17:18]
	v_add_f64_e32 v[23:24], v[12:13], v[19:20]
	v_add_f64_e64 v[12:13], v[12:13], -v[19:20]
	v_add_f64_e32 v[10:11], v[10:11], v[17:18]
	s_delay_alu instid0(VALU_DEP_4) | instskip(NEXT) | instid1(VALU_DEP_4)
	v_mul_f64_e32 v[19:20], 0.5, v[21:22]
	v_mul_f64_e32 v[21:22], 0.5, v[23:24]
	s_delay_alu instid0(VALU_DEP_4) | instskip(SKIP_1) | instid1(VALU_DEP_3)
	v_mul_f64_e32 v[12:13], 0.5, v[12:13]
	s_wait_loadcnt 0x1
	v_mul_f64_e32 v[17:18], v[19:20], v[4:5]
	s_delay_alu instid0(VALU_DEP_2) | instskip(SKIP_1) | instid1(VALU_DEP_3)
	v_fma_f64 v[23:24], v[21:22], v[4:5], v[12:13]
	v_fma_f64 v[4:5], v[21:22], v[4:5], -v[12:13]
	v_fma_f64 v[12:13], v[10:11], 0.5, v[17:18]
	v_fma_f64 v[10:11], v[10:11], 0.5, -v[17:18]
	s_delay_alu instid0(VALU_DEP_4) | instskip(NEXT) | instid1(VALU_DEP_4)
	v_fma_f64 v[17:18], -v[2:3], v[19:20], v[23:24]
	v_fma_f64 v[4:5], -v[2:3], v[19:20], v[4:5]
	s_delay_alu instid0(VALU_DEP_4) | instskip(NEXT) | instid1(VALU_DEP_4)
	v_fma_f64 v[12:13], v[21:22], v[2:3], v[12:13]
	v_fma_f64 v[2:3], -v[21:22], v[2:3], v[10:11]
	v_add_nc_u32_e32 v10, 0x2000, v65
	ds_store_2addr_b64 v10, v[12:13], v[17:18] offset0:26 offset1:27
	ds_store_b128 v16, v[2:5] offset:19600
	ds_load_b128 v[2:5], v14
	ds_load_b128 v[10:13], v16 offset:16800
	s_wait_dscnt 0x0
	v_add_f64_e64 v[17:18], v[2:3], -v[10:11]
	v_add_f64_e32 v[19:20], v[4:5], v[12:13]
	v_add_f64_e64 v[4:5], v[4:5], -v[12:13]
	v_add_f64_e32 v[2:3], v[2:3], v[10:11]
	s_delay_alu instid0(VALU_DEP_4) | instskip(NEXT) | instid1(VALU_DEP_4)
	v_mul_f64_e32 v[12:13], 0.5, v[17:18]
	v_mul_f64_e32 v[17:18], 0.5, v[19:20]
	s_delay_alu instid0(VALU_DEP_4) | instskip(SKIP_1) | instid1(VALU_DEP_3)
	v_mul_f64_e32 v[4:5], 0.5, v[4:5]
	s_wait_loadcnt 0x0
	v_mul_f64_e32 v[10:11], v[12:13], v[8:9]
	s_delay_alu instid0(VALU_DEP_2) | instskip(SKIP_1) | instid1(VALU_DEP_3)
	v_fma_f64 v[19:20], v[17:18], v[8:9], v[4:5]
	v_fma_f64 v[4:5], v[17:18], v[8:9], -v[4:5]
	v_fma_f64 v[8:9], v[2:3], 0.5, v[10:11]
	v_fma_f64 v[2:3], v[2:3], 0.5, -v[10:11]
	s_delay_alu instid0(VALU_DEP_4) | instskip(NEXT) | instid1(VALU_DEP_4)
	v_fma_f64 v[10:11], -v[6:7], v[12:13], v[19:20]
	v_fma_f64 v[4:5], -v[6:7], v[12:13], v[4:5]
	s_delay_alu instid0(VALU_DEP_4) | instskip(NEXT) | instid1(VALU_DEP_4)
	v_fma_f64 v[8:9], v[17:18], v[6:7], v[8:9]
	v_fma_f64 v[2:3], -v[17:18], v[6:7], v[2:3]
	ds_store_b64 v14, v[10:11] offset:8
	ds_store_b64 v16, v[4:5] offset:16808
	ds_store_b64 v14, v[8:9]
	ds_store_b64 v16, v[2:3] offset:16800
	global_wb scope:SCOPE_SE
	s_wait_dscnt 0x0
	s_barrier_signal -1
	s_barrier_wait -1
	global_inv scope:SCOPE_SE
	s_and_saveexec_b32 s0, vcc_lo
	s_cbranch_execz .LBB0_24
; %bb.22:
	ds_load_b128 v[4:7], v65
	ds_load_b128 v[8:11], v65 offset:2800
	ds_load_b128 v[12:15], v65 offset:5600
	;; [unrolled: 1-line block ×9, first 2 shown]
	v_add_co_u32 v2, vcc_lo, s8, v58
	s_wait_alu 0xfffd
	v_add_co_ci_u32_e32 v3, vcc_lo, s9, v59, vcc_lo
	s_delay_alu instid0(VALU_DEP_2) | instskip(SKIP_1) | instid1(VALU_DEP_2)
	v_add_co_u32 v0, vcc_lo, v2, v0
	s_wait_alu 0xfffd
	v_add_co_ci_u32_e32 v1, vcc_lo, v3, v1, vcc_lo
	v_cmp_eq_u32_e32 vcc_lo, 0xae, v56
	s_wait_dscnt 0x9
	global_store_b128 v[0:1], v[4:7], off
	s_wait_dscnt 0x8
	global_store_b128 v[0:1], v[8:11], off offset:2800
	s_wait_dscnt 0x7
	global_store_b128 v[0:1], v[12:15], off offset:5600
	;; [unrolled: 2-line block ×9, first 2 shown]
	s_and_b32 exec_lo, exec_lo, vcc_lo
	s_cbranch_execz .LBB0_24
; %bb.23:
	v_mov_b32_e32 v0, 0
	ds_load_b128 v[4:7], v0 offset:28000
	s_wait_dscnt 0x0
	global_store_b128 v[2:3], v[4:7], off offset:28000
.LBB0_24:
	s_nop 0
	s_sendmsg sendmsg(MSG_DEALLOC_VGPRS)
	s_endpgm
	.section	.rodata,"a",@progbits
	.p2align	6, 0x0
	.amdhsa_kernel fft_rtc_back_len1750_factors_2_5_5_7_5_wgs_175_tpt_175_halfLds_dp_ip_CI_unitstride_sbrr_R2C_dirReg
		.amdhsa_group_segment_fixed_size 0
		.amdhsa_private_segment_fixed_size 0
		.amdhsa_kernarg_size 88
		.amdhsa_user_sgpr_count 2
		.amdhsa_user_sgpr_dispatch_ptr 0
		.amdhsa_user_sgpr_queue_ptr 0
		.amdhsa_user_sgpr_kernarg_segment_ptr 1
		.amdhsa_user_sgpr_dispatch_id 0
		.amdhsa_user_sgpr_private_segment_size 0
		.amdhsa_wavefront_size32 1
		.amdhsa_uses_dynamic_stack 0
		.amdhsa_enable_private_segment 0
		.amdhsa_system_sgpr_workgroup_id_x 1
		.amdhsa_system_sgpr_workgroup_id_y 0
		.amdhsa_system_sgpr_workgroup_id_z 0
		.amdhsa_system_sgpr_workgroup_info 0
		.amdhsa_system_vgpr_workitem_id 0
		.amdhsa_next_free_vgpr 119
		.amdhsa_next_free_sgpr 32
		.amdhsa_reserve_vcc 1
		.amdhsa_float_round_mode_32 0
		.amdhsa_float_round_mode_16_64 0
		.amdhsa_float_denorm_mode_32 3
		.amdhsa_float_denorm_mode_16_64 3
		.amdhsa_fp16_overflow 0
		.amdhsa_workgroup_processor_mode 1
		.amdhsa_memory_ordered 1
		.amdhsa_forward_progress 0
		.amdhsa_round_robin_scheduling 0
		.amdhsa_exception_fp_ieee_invalid_op 0
		.amdhsa_exception_fp_denorm_src 0
		.amdhsa_exception_fp_ieee_div_zero 0
		.amdhsa_exception_fp_ieee_overflow 0
		.amdhsa_exception_fp_ieee_underflow 0
		.amdhsa_exception_fp_ieee_inexact 0
		.amdhsa_exception_int_div_zero 0
	.end_amdhsa_kernel
	.text
.Lfunc_end0:
	.size	fft_rtc_back_len1750_factors_2_5_5_7_5_wgs_175_tpt_175_halfLds_dp_ip_CI_unitstride_sbrr_R2C_dirReg, .Lfunc_end0-fft_rtc_back_len1750_factors_2_5_5_7_5_wgs_175_tpt_175_halfLds_dp_ip_CI_unitstride_sbrr_R2C_dirReg
                                        ; -- End function
	.section	.AMDGPU.csdata,"",@progbits
; Kernel info:
; codeLenInByte = 10400
; NumSgprs: 34
; NumVgprs: 119
; ScratchSize: 0
; MemoryBound: 0
; FloatMode: 240
; IeeeMode: 1
; LDSByteSize: 0 bytes/workgroup (compile time only)
; SGPRBlocks: 4
; VGPRBlocks: 14
; NumSGPRsForWavesPerEU: 34
; NumVGPRsForWavesPerEU: 119
; Occupancy: 12
; WaveLimiterHint : 1
; COMPUTE_PGM_RSRC2:SCRATCH_EN: 0
; COMPUTE_PGM_RSRC2:USER_SGPR: 2
; COMPUTE_PGM_RSRC2:TRAP_HANDLER: 0
; COMPUTE_PGM_RSRC2:TGID_X_EN: 1
; COMPUTE_PGM_RSRC2:TGID_Y_EN: 0
; COMPUTE_PGM_RSRC2:TGID_Z_EN: 0
; COMPUTE_PGM_RSRC2:TIDIG_COMP_CNT: 0
	.text
	.p2alignl 7, 3214868480
	.fill 96, 4, 3214868480
	.type	__hip_cuid_2ac5fb5cd5e50fd5,@object ; @__hip_cuid_2ac5fb5cd5e50fd5
	.section	.bss,"aw",@nobits
	.globl	__hip_cuid_2ac5fb5cd5e50fd5
__hip_cuid_2ac5fb5cd5e50fd5:
	.byte	0                               ; 0x0
	.size	__hip_cuid_2ac5fb5cd5e50fd5, 1

	.ident	"AMD clang version 19.0.0git (https://github.com/RadeonOpenCompute/llvm-project roc-6.4.0 25133 c7fe45cf4b819c5991fe208aaa96edf142730f1d)"
	.section	".note.GNU-stack","",@progbits
	.addrsig
	.addrsig_sym __hip_cuid_2ac5fb5cd5e50fd5
	.amdgpu_metadata
---
amdhsa.kernels:
  - .args:
      - .actual_access:  read_only
        .address_space:  global
        .offset:         0
        .size:           8
        .value_kind:     global_buffer
      - .offset:         8
        .size:           8
        .value_kind:     by_value
      - .actual_access:  read_only
        .address_space:  global
        .offset:         16
        .size:           8
        .value_kind:     global_buffer
      - .actual_access:  read_only
        .address_space:  global
        .offset:         24
        .size:           8
        .value_kind:     global_buffer
      - .offset:         32
        .size:           8
        .value_kind:     by_value
      - .actual_access:  read_only
        .address_space:  global
        .offset:         40
        .size:           8
        .value_kind:     global_buffer
      - .actual_access:  read_only
        .address_space:  global
        .offset:         48
        .size:           8
        .value_kind:     global_buffer
      - .offset:         56
        .size:           4
        .value_kind:     by_value
      - .actual_access:  read_only
        .address_space:  global
        .offset:         64
        .size:           8
        .value_kind:     global_buffer
      - .actual_access:  read_only
        .address_space:  global
        .offset:         72
        .size:           8
        .value_kind:     global_buffer
      - .address_space:  global
        .offset:         80
        .size:           8
        .value_kind:     global_buffer
    .group_segment_fixed_size: 0
    .kernarg_segment_align: 8
    .kernarg_segment_size: 88
    .language:       OpenCL C
    .language_version:
      - 2
      - 0
    .max_flat_workgroup_size: 175
    .name:           fft_rtc_back_len1750_factors_2_5_5_7_5_wgs_175_tpt_175_halfLds_dp_ip_CI_unitstride_sbrr_R2C_dirReg
    .private_segment_fixed_size: 0
    .sgpr_count:     34
    .sgpr_spill_count: 0
    .symbol:         fft_rtc_back_len1750_factors_2_5_5_7_5_wgs_175_tpt_175_halfLds_dp_ip_CI_unitstride_sbrr_R2C_dirReg.kd
    .uniform_work_group_size: 1
    .uses_dynamic_stack: false
    .vgpr_count:     119
    .vgpr_spill_count: 0
    .wavefront_size: 32
    .workgroup_processor_mode: 1
amdhsa.target:   amdgcn-amd-amdhsa--gfx1201
amdhsa.version:
  - 1
  - 2
...

	.end_amdgpu_metadata
